;; amdgpu-corpus repo=ROCm/rocFFT kind=compiled arch=gfx1201 opt=O3
	.text
	.amdgcn_target "amdgcn-amd-amdhsa--gfx1201"
	.amdhsa_code_object_version 6
	.protected	fft_rtc_fwd_len256_factors_8_2_16_wgs_256_tpt_16_dim3_sp_op_CI_CI_sbrc_xy_z_aligned_dirReg ; -- Begin function fft_rtc_fwd_len256_factors_8_2_16_wgs_256_tpt_16_dim3_sp_op_CI_CI_sbrc_xy_z_aligned_dirReg
	.globl	fft_rtc_fwd_len256_factors_8_2_16_wgs_256_tpt_16_dim3_sp_op_CI_CI_sbrc_xy_z_aligned_dirReg
	.p2align	8
	.type	fft_rtc_fwd_len256_factors_8_2_16_wgs_256_tpt_16_dim3_sp_op_CI_CI_sbrc_xy_z_aligned_dirReg,@function
fft_rtc_fwd_len256_factors_8_2_16_wgs_256_tpt_16_dim3_sp_op_CI_CI_sbrc_xy_z_aligned_dirReg: ; @fft_rtc_fwd_len256_factors_8_2_16_wgs_256_tpt_16_dim3_sp_op_CI_CI_sbrc_xy_z_aligned_dirReg
; %bb.0:
	s_load_b256 s[4:11], s[0:1], 0x0
	s_mov_b32 s25, 0
	s_mov_b32 s24, ttmp9
	s_mov_b64 s[28:29], 0
	s_wait_kmcnt 0x0
	s_load_b128 s[20:23], s[6:7], 0x8
	s_load_b128 s[12:15], s[10:11], 0x0
	s_clause 0x1
	s_load_b128 s[16:19], s[8:9], 0x0
	s_load_b64 s[26:27], s[8:9], 0x10
	s_wait_kmcnt 0x0
	s_add_co_i32 s2, s22, -1
	s_load_b64 s[22:23], s[10:11], 0x10
	s_lshr_b32 s2, s2, 4
	s_delay_alu instid0(SALU_CYCLE_1) | instskip(NEXT) | instid1(SALU_CYCLE_1)
	s_add_co_i32 s2, s2, 1
	s_mul_i32 s2, s2, s20
	s_delay_alu instid0(SALU_CYCLE_1) | instskip(SKIP_1) | instid1(SALU_CYCLE_2)
	s_cvt_f32_u32 s3, s2
	s_sub_co_i32 s6, 0, s2
	v_rcp_iflag_f32_e32 v1, s3
	s_delay_alu instid0(TRANS32_DEP_1) | instskip(SKIP_1) | instid1(VALU_DEP_2)
	v_readfirstlane_b32 s3, v1
	v_cvt_f32_u32_e32 v1, s20
	s_mul_f32 s3, s3, 0x4f7ffffe
	s_wait_alu 0xfffe
	s_delay_alu instid0(SALU_CYCLE_2) | instskip(SKIP_1) | instid1(SALU_CYCLE_2)
	s_cvt_u32_f32 s3, s3
	s_wait_alu 0xfffe
	s_mul_i32 s6, s6, s3
	s_delay_alu instid0(SALU_CYCLE_1) | instskip(NEXT) | instid1(SALU_CYCLE_1)
	s_mul_hi_u32 s6, s3, s6
	s_add_co_i32 s3, s3, s6
	s_wait_alu 0xfffe
	s_mul_hi_u32 s3, ttmp9, s3
	s_wait_alu 0xfffe
	s_mul_i32 s6, s3, s2
	s_add_co_i32 s7, s3, 1
	s_sub_co_i32 s6, ttmp9, s6
	s_delay_alu instid0(SALU_CYCLE_1)
	s_sub_co_i32 s15, s6, s2
	s_cmp_ge_u32 s6, s2
	s_cselect_b32 s3, s7, s3
	s_cselect_b32 s6, s15, s6
	s_wait_alu 0xfffe
	s_add_co_i32 s7, s3, 1
	s_cmp_ge_u32 s6, s2
	s_cselect_b32 s6, s7, s3
	s_mov_b32 s3, s25
	s_mul_i32 s2, s6, s2
	s_wait_alu 0xfffe
	s_sub_co_i32 s2, ttmp9, s2
	s_wait_alu 0xfffe
	v_cmp_lt_u64_e64 s3, s[2:3], s[20:21]
	s_delay_alu instid0(VALU_DEP_1)
	s_and_b32 vcc_lo, exec_lo, s3
	s_cbranch_vccnz .LBB0_2
; %bb.1:
	v_rcp_iflag_f32_e32 v2, v1
	s_sub_co_i32 s7, 0, s20
	s_delay_alu instid0(TRANS32_DEP_1) | instskip(NEXT) | instid1(VALU_DEP_1)
	v_mul_f32_e32 v2, 0x4f7ffffe, v2
	v_cvt_u32_f32_e32 v2, v2
	s_delay_alu instid0(VALU_DEP_1) | instskip(NEXT) | instid1(VALU_DEP_1)
	v_readfirstlane_b32 s3, v2
	s_mul_i32 s7, s7, s3
	s_delay_alu instid0(SALU_CYCLE_1) | instskip(NEXT) | instid1(SALU_CYCLE_1)
	s_mul_hi_u32 s7, s3, s7
	s_add_co_i32 s3, s3, s7
	s_wait_alu 0xfffe
	s_mul_hi_u32 s3, s2, s3
	s_wait_alu 0xfffe
	s_mul_i32 s7, s3, s20
	s_delay_alu instid0(SALU_CYCLE_1)
	s_sub_co_i32 s2, s2, s7
	s_add_co_i32 s7, s3, 1
	s_wait_alu 0xfffe
	s_sub_co_i32 s15, s2, s20
	s_cmp_ge_u32 s2, s20
	s_cselect_b32 s3, s7, s3
	s_cselect_b32 s2, s15, s2
	s_wait_alu 0xfffe
	s_add_co_i32 s7, s3, 1
	s_cmp_ge_u32 s2, s20
	s_cselect_b32 s28, s7, s3
.LBB0_2:
	s_load_b128 s[0:3], s[0:1], 0x50
	v_cmp_lt_u64_e64 s7, s[24:25], s[20:21]
	s_delay_alu instid0(VALU_DEP_1)
	s_and_b32 vcc_lo, exec_lo, s7
	s_cbranch_vccnz .LBB0_4
; %bb.3:
	v_rcp_iflag_f32_e32 v1, v1
	s_sub_co_i32 s15, 0, s20
	s_delay_alu instid0(TRANS32_DEP_1) | instskip(NEXT) | instid1(VALU_DEP_1)
	v_mul_f32_e32 v1, 0x4f7ffffe, v1
	v_cvt_u32_f32_e32 v1, v1
	s_delay_alu instid0(VALU_DEP_1) | instskip(NEXT) | instid1(VALU_DEP_1)
	v_readfirstlane_b32 s7, v1
	s_mul_i32 s15, s15, s7
	s_delay_alu instid0(SALU_CYCLE_1) | instskip(NEXT) | instid1(SALU_CYCLE_1)
	s_mul_hi_u32 s15, s7, s15
	s_add_co_i32 s7, s7, s15
	s_delay_alu instid0(SALU_CYCLE_1) | instskip(NEXT) | instid1(SALU_CYCLE_1)
	s_mul_hi_u32 s7, s24, s7
	s_mul_i32 s7, s7, s20
	s_delay_alu instid0(SALU_CYCLE_1) | instskip(NEXT) | instid1(SALU_CYCLE_1)
	s_sub_co_i32 s7, s24, s7
	s_sub_co_i32 s15, s7, s20
	s_cmp_ge_u32 s7, s20
	s_cselect_b32 s7, s15, s7
	s_delay_alu instid0(SALU_CYCLE_1)
	s_sub_co_i32 s15, s7, s20
	s_cmp_ge_u32 s7, s20
	s_cselect_b32 s24, s15, s7
.LBB0_4:
	s_load_b64 s[20:21], s[8:9], 0x18
	v_mad_co_u64_u32 v[1:2], null, s16, v0, 0
	s_mov_b32 s9, 0
	s_lshl_b32 s15, s28, 4
	s_mov_b32 s7, s9
	s_mul_i32 s8, s24, s18
	s_mul_i32 s16, s15, s26
	s_mov_b32 s27, s9
	s_delay_alu instid0(VALU_DEP_1)
	v_mad_co_u64_u32 v[2:3], null, s17, v0, v[2:3]
	s_wait_alu 0xfffe
	s_add_co_i32 s8, s8, s16
	s_lshl_b64 s[16:17], s[26:27], 3
	s_lshl_b64 s[18:19], s[8:9], 3
	s_add_co_i32 s8, s26, s26
	v_bfe_u32 v39, v0, 4, 3
	s_lshl_b64 s[28:29], s[8:9], 3
	v_lshlrev_b64_e32 v[1:2], 3, v[1:2]
	s_add_co_i32 s8, s8, s26
	s_wait_kmcnt 0x0
	s_mul_u64 s[20:21], s[20:21], s[6:7]
	s_wait_alu 0xfffe
	s_lshl_b64 s[20:21], s[20:21], 3
	s_wait_alu 0xfffe
	s_add_nc_u64 s[0:1], s[0:1], s[20:21]
	s_delay_alu instid0(SALU_CYCLE_1) | instskip(NEXT) | instid1(SALU_CYCLE_1)
	s_add_nc_u64 s[0:1], s[0:1], s[18:19]
	v_add_co_u32 v1, vcc_lo, s0, v1
	v_add_co_ci_u32_e32 v2, vcc_lo, s1, v2, vcc_lo
	s_lshl_b64 s[0:1], s[8:9], 3
	s_delay_alu instid0(VALU_DEP_2) | instskip(SKIP_1) | instid1(VALU_DEP_2)
	v_add_co_u32 v3, vcc_lo, v1, s16
	s_wait_alu 0xfffd
	v_add_co_ci_u32_e32 v4, vcc_lo, s17, v2, vcc_lo
	v_add_co_u32 v5, vcc_lo, v1, s28
	s_wait_alu 0xfffd
	v_add_co_ci_u32_e32 v6, vcc_lo, s29, v2, vcc_lo
	s_wait_alu 0xfffe
	v_add_co_u32 v7, vcc_lo, v1, s0
	s_add_co_i32 s8, s8, s26
	s_wait_alu 0xfffd
	v_add_co_ci_u32_e32 v8, vcc_lo, s1, v2, vcc_lo
	s_lshl_b64 s[0:1], s[8:9], 3
	s_clause 0x3
	global_load_b64 v[10:11], v[1:2], off
	global_load_b64 v[12:13], v[3:4], off
	;; [unrolled: 1-line block ×4, first 2 shown]
	s_add_co_i32 s8, s8, s26
	s_wait_alu 0xfffe
	v_add_co_u32 v8, vcc_lo, v1, s0
	s_wait_alu 0xfffd
	v_add_co_ci_u32_e32 v9, vcc_lo, s1, v2, vcc_lo
	s_lshl_b64 s[0:1], s[8:9], 3
	s_add_co_i32 s8, s8, s26
	s_wait_alu 0xfffe
	v_add_co_u32 v14, vcc_lo, v1, s0
	s_wait_alu 0xfffd
	v_add_co_ci_u32_e32 v15, vcc_lo, s1, v2, vcc_lo
	s_lshl_b64 s[0:1], s[8:9], 3
	;; [unrolled: 6-line block ×4, first 2 shown]
	s_clause 0x3
	global_load_b64 v[20:21], v[8:9], off
	global_load_b64 v[14:15], v[14:15], off
	global_load_b64 v[16:17], v[16:17], off
	global_load_b64 v[18:19], v[18:19], off
	s_add_co_i32 s8, s8, s26
	s_wait_alu 0xfffe
	v_add_co_u32 v8, vcc_lo, v1, s0
	s_wait_alu 0xfffd
	v_add_co_ci_u32_e32 v9, vcc_lo, s1, v2, vcc_lo
	s_lshl_b64 s[0:1], s[8:9], 3
	s_add_co_i32 s8, s8, s26
	s_wait_alu 0xfffe
	v_add_co_u32 v22, vcc_lo, v1, s0
	s_wait_alu 0xfffd
	v_add_co_ci_u32_e32 v23, vcc_lo, s1, v2, vcc_lo
	s_lshl_b64 s[0:1], s[8:9], 3
	;; [unrolled: 6-line block ×7, first 2 shown]
	v_lshrrev_b32_e32 v3, 4, v0
	s_wait_alu 0xfffe
	v_add_co_u32 v1, vcc_lo, v1, s0
	s_wait_alu 0xfffd
	v_add_co_ci_u32_e32 v2, vcc_lo, s1, v2, vcc_lo
	s_clause 0x7
	global_load_b64 v[34:35], v[8:9], off
	global_load_b64 v[22:23], v[22:23], off
	;; [unrolled: 1-line block ×8, first 2 shown]
	v_and_b32_e32 v2, 15, v0
	v_lshlrev_b32_e32 v1, 7, v3
	v_lshl_add_u32 v8, v0, 7, 0
	s_load_b64 s[0:1], s[10:11], 0x18
	v_or_b32_e32 v38, 16, v3
	v_lshlrev_b32_e32 v9, 3, v2
	v_lshrrev_b32_e32 v0, 3, v0
	s_lshl_b32 s10, s14, 4
	s_mul_i32 s8, s24, s22
	s_wait_loadcnt 0xe
	ds_store_2addr_b64 v8, v[10:11], v[12:13] offset1:1
	s_wait_loadcnt 0xc
	ds_store_2addr_b64 v8, v[4:5], v[6:7] offset0:2 offset1:3
	s_wait_loadcnt 0xa
	ds_store_2addr_b64 v8, v[20:21], v[14:15] offset0:4 offset1:5
	;; [unrolled: 2-line block ×7, first 2 shown]
	v_add3_u32 v1, 0, v1, v9
	global_wb scope:SCOPE_SE
	s_wait_dscnt 0x0
	s_wait_kmcnt 0x0
	s_barrier_signal -1
	s_barrier_wait -1
	global_inv scope:SCOPE_SE
	ds_load_2addr_stride64_b64 v[4:7], v1 offset1:4
	ds_load_2addr_stride64_b64 v[10:13], v1 offset0:32 offset1:36
	ds_load_2addr_stride64_b64 v[14:17], v1 offset0:16 offset1:20
	;; [unrolled: 1-line block ×7, first 2 shown]
	v_lshlrev_b32_e32 v8, 10, v38
	v_lshlrev_b32_e32 v40, 3, v39
	v_mad_u32_u24 v41, 0x380, v3, v1
	global_wb scope:SCOPE_SE
	s_wait_dscnt 0x0
	s_barrier_signal -1
	s_barrier_wait -1
	global_inv scope:SCOPE_SE
	v_and_or_b32 v0, v0, 16, v39
	s_mul_u64 s[0:1], s[0:1], s[6:7]
	s_wait_alu 0xfffe
	s_lshl_b64 s[0:1], s[0:1], 3
	s_wait_alu 0xfffe
	s_add_nc_u64 s[0:1], s[2:3], s[0:1]
	v_sub_f32_e32 v13, v7, v13
	v_add3_u32 v42, 0, v8, v9
	v_sub_f32_e32 v8, v4, v10
	v_dual_sub_f32 v10, v5, v11 :: v_dual_sub_f32 v11, v14, v18
	v_dual_sub_f32 v18, v15, v19 :: v_dual_sub_f32 v19, v22, v26
	;; [unrolled: 1-line block ×5, first 2 shown]
	v_sub_f32_e32 v28, v24, v28
	v_dual_sub_f32 v35, v32, v36 :: v_dual_sub_f32 v36, v33, v37
	v_sub_f32_e32 v12, v6, v12
	v_fma_f32 v37, v4, 2.0, -v8
	v_fma_f32 v43, v5, 2.0, -v10
	;; [unrolled: 1-line block ×8, first 2 shown]
	v_dual_add_f32 v31, v10, v11 :: v_dual_sub_f32 v30, v8, v18
	v_dual_sub_f32 v18, v19, v34 :: v_dual_add_f32 v27, v26, v27
	v_fma_f32 v44, v7, 2.0, -v13
	v_fma_f32 v7, v17, 2.0, -v21
	;; [unrolled: 1-line block ×3, first 2 shown]
	v_sub_f32_e32 v25, v37, v4
	v_fma_f32 v11, v32, 2.0, -v35
	v_dual_sub_f32 v32, v12, v21 :: v_dual_sub_f32 v23, v15, v23
	v_add_f32_e32 v21, v29, v35
	v_fma_f32 v34, v6, 2.0, -v12
	v_fma_f32 v6, v16, 2.0, -v20
	;; [unrolled: 1-line block ×4, first 2 shown]
	v_add_f32_e32 v33, v13, v20
	v_dual_sub_f32 v20, v28, v36 :: v_dual_sub_f32 v35, v43, v5
	v_fma_f32 v8, v8, 2.0, -v30
	v_fma_f32 v36, v10, 2.0, -v31
	v_dual_sub_f32 v22, v14, v22 :: v_dual_fmamk_f32 v5, v27, 0x3f3504f3, v31
	v_fma_f32 v45, v19, 2.0, -v18
	v_fma_f32 v26, v26, 2.0, -v27
	v_dual_fmamk_f32 v4, v18, 0x3f3504f3, v30 :: v_dual_sub_f32 v47, v44, v7
	v_dual_sub_f32 v46, v34, v6 :: v_dual_sub_f32 v19, v16, v11
	v_fma_f32 v48, v12, 2.0, -v32
	v_fma_f32 v49, v13, 2.0, -v33
	v_dual_sub_f32 v24, v17, v24 :: v_dual_fmamk_f32 v11, v26, 0xbf3504f3, v36
	v_fma_f32 v28, v28, 2.0, -v20
	v_fma_f32 v29, v29, 2.0, -v21
	v_dual_fmamk_f32 v6, v20, 0x3f3504f3, v32 :: v_dual_fmamk_f32 v7, v21, 0x3f3504f3, v33
	v_fma_f32 v37, v37, 2.0, -v25
	v_fma_f32 v43, v43, 2.0, -v35
	;; [unrolled: 1-line block ×4, first 2 shown]
	v_dual_fmamk_f32 v10, v45, 0xbf3504f3, v8 :: v_dual_add_f32 v13, v35, v22
	v_dual_sub_f32 v12, v25, v23 :: v_dual_fmac_f32 v5, 0x3f3504f3, v18
	v_dual_fmac_f32 v4, 0xbf3504f3, v27 :: v_dual_fmamk_f32 v15, v29, 0xbf3504f3, v49
	v_fma_f32 v34, v34, 2.0, -v46
	v_fma_f32 v44, v44, 2.0, -v47
	;; [unrolled: 1-line block ×4, first 2 shown]
	v_dual_fmamk_f32 v14, v28, 0xbf3504f3, v48 :: v_dual_add_f32 v17, v47, v19
	v_dual_sub_f32 v16, v46, v24 :: v_dual_sub_f32 v19, v43, v51
	v_fmac_f32_e32 v6, 0xbf3504f3, v21
	v_dual_fmac_f32 v7, 0x3f3504f3, v20 :: v_dual_sub_f32 v18, v37, v50
	v_fmac_f32_e32 v10, 0xbf3504f3, v26
	v_dual_fmac_f32 v11, 0x3f3504f3, v45 :: v_dual_sub_f32 v24, v34, v27
	v_fma_f32 v20, v25, 2.0, -v12
	v_dual_sub_f32 v25, v44, v52 :: v_dual_fmac_f32 v14, 0xbf3504f3, v29
	v_fmac_f32_e32 v15, 0x3f3504f3, v28
	v_fma_f32 v21, v35, 2.0, -v13
	v_fma_f32 v22, v30, 2.0, -v4
	;; [unrolled: 1-line block ×15, first 2 shown]
	ds_store_2addr_b64 v41, v[12:13], v[4:5] offset0:96 offset1:112
	ds_store_2addr_b64 v41, v[20:21], v[22:23] offset0:32 offset1:48
	;; [unrolled: 1-line block ×3, first 2 shown]
	ds_store_2addr_b64 v41, v[30:31], v[32:33] offset1:16
	ds_store_2addr_b64 v42, v[34:35], v[36:37] offset1:16
	ds_store_2addr_b64 v42, v[26:27], v[28:29] offset0:32 offset1:48
	ds_store_2addr_b64 v42, v[24:25], v[14:15] offset0:64 offset1:80
	;; [unrolled: 1-line block ×3, first 2 shown]
	global_wb scope:SCOPE_SE
	s_wait_dscnt 0x0
	s_barrier_signal -1
	s_barrier_wait -1
	global_inv scope:SCOPE_SE
	global_load_b64 v[27:28], v40, s[4:5]
	v_or_b32_e32 v4, 32, v3
	v_or_b32_e32 v5, 48, v3
	v_or_b32_e32 v6, 64, v3
	v_or_b32_e32 v8, 0x60, v3
	v_mul_u32_u24_e32 v11, 15, v3
	v_lshlrev_b32_e32 v12, 7, v4
	v_lshlrev_b32_e32 v13, 7, v5
	;; [unrolled: 1-line block ×11, first 2 shown]
	v_add3_u32 v8, 0, v12, v9
	v_add3_u32 v0, 0, v13, v9
	v_and_or_b32 v11, v19, 48, v39
	v_and_or_b32 v12, 0x50, v20, v39
	;; [unrolled: 1-line block ×3, first 2 shown]
	v_add3_u32 v4, 0, v14, v9
	v_and_or_b32 v14, 0x90, v22, v39
	v_lshlrev_b32_e32 v11, 7, v11
	v_lshlrev_b32_e32 v12, 7, v12
	;; [unrolled: 1-line block ×3, first 2 shown]
	v_add3_u32 v46, 0, v18, v9
	v_lshlrev_b32_e32 v18, 7, v14
	v_add3_u32 v47, 0, v11, v9
	v_add3_u32 v48, 0, v12, v9
	;; [unrolled: 1-line block ×3, first 2 shown]
	ds_load_2addr_stride64_b64 v[11:14], v1 offset1:32
	v_or_b32_e32 v7, 0x50, v3
	v_or_b32_e32 v10, 0x70, v3
	v_add3_u32 v6, 0, v16, v9
	v_add3_u32 v50, 0, v18, v9
	v_add_nc_u32_e32 v37, 0x7800, v1
	v_lshlrev_b32_e32 v15, 7, v7
	v_lshlrev_b32_e32 v17, 7, v10
	;; [unrolled: 1-line block ×4, first 2 shown]
	s_delay_alu instid0(VALU_DEP_4) | instskip(NEXT) | instid1(VALU_DEP_3)
	v_add3_u32 v5, 0, v15, v9
	v_and_or_b32 v15, 0xb0, v23, v39
	s_delay_alu instid0(VALU_DEP_1) | instskip(NEXT) | instid1(VALU_DEP_1)
	v_lshlrev_b32_e32 v19, 7, v15
	v_add3_u32 v51, 0, v19, v9
	s_wait_loadcnt_dscnt 0x0
	v_mul_f32_e32 v53, v28, v14
	v_mul_f32_e32 v54, v28, v13
	v_add3_u32 v7, 0, v17, v9
	v_and_or_b32 v17, 0xf0, v10, v39
	v_mad_i32_i24 v10, 0xfffffc80, v38, v42
	v_fma_f32 v13, v27, v13, -v53
	s_delay_alu instid0(VALU_DEP_3) | instskip(NEXT) | instid1(VALU_DEP_2)
	v_dual_fmac_f32 v54, v27, v14 :: v_dual_lshlrev_b32 v21, 7, v17
	v_sub_f32_e32 v13, v11, v13
	v_and_or_b32 v16, 0xd0, v24, v39
	s_delay_alu instid0(VALU_DEP_2) | instskip(NEXT) | instid1(VALU_DEP_2)
	v_fma_f32 v11, v11, 2.0, -v13
	v_lshlrev_b32_e32 v20, 7, v16
	ds_load_2addr_stride64_b64 v[15:18], v1 offset0:36 offset1:40
	v_add3_u32 v52, 0, v20, v9
	s_wait_dscnt 0x0
	v_mul_f32_e32 v56, v28, v15
	v_mul_f32_e32 v55, v28, v16
	;; [unrolled: 1-line block ×4, first 2 shown]
	s_delay_alu instid0(VALU_DEP_4)
	v_fmac_f32_e32 v56, v27, v16
	v_add3_u32 v9, 0, v21, v9
	ds_load_2addr_stride64_b64 v[19:22], v1 offset0:44 offset1:48
	ds_load_2addr_stride64_b64 v[23:26], v1 offset0:52 offset1:56
	ds_load_b64 v[29:30], v10
	ds_load_b64 v[31:32], v8
	;; [unrolled: 1-line block ×4, first 2 shown]
	ds_load_2addr_b32 v[37:38], v37 offset1:1
	ds_load_b64 v[39:40], v5
	ds_load_b64 v[41:42], v6
	;; [unrolled: 1-line block ×3, first 2 shown]
	v_fma_f32 v15, v27, v15, -v55
	v_fma_f32 v17, v27, v17, -v57
	v_fmac_f32_e32 v58, v27, v18
	global_wb scope:SCOPE_SE
	s_wait_dscnt 0x0
	s_barrier_signal -1
	s_barrier_wait -1
	global_inv scope:SCOPE_SE
	v_mul_f32_e32 v59, v28, v20
	v_mul_f32_e32 v60, v28, v19
	;; [unrolled: 1-line block ×3, first 2 shown]
	v_sub_f32_e32 v17, v31, v17
	v_mul_f32_e32 v62, v28, v21
	v_mul_f32_e32 v63, v28, v24
	;; [unrolled: 1-line block ×4, first 2 shown]
	v_dual_mul_f32 v66, v28, v25 :: v_dual_mul_f32 v67, v38, v28
	v_mul_f32_e32 v28, v28, v37
	v_fma_f32 v19, v27, v19, -v59
	v_fmac_f32_e32 v60, v27, v20
	v_fma_f32 v21, v27, v21, -v61
	v_fma_f32 v23, v27, v23, -v63
	v_fmac_f32_e32 v64, v27, v24
	v_fma_f32 v25, v27, v25, -v65
	v_fmac_f32_e32 v62, v27, v22
	v_fmac_f32_e32 v66, v27, v26
	v_fma_f32 v37, v27, v37, -v67
	v_dual_fmac_f32 v28, v38, v27 :: v_dual_sub_f32 v21, v35, v21
	v_dual_sub_f32 v14, v12, v54 :: v_dual_sub_f32 v23, v39, v23
	v_dual_sub_f32 v15, v29, v15 :: v_dual_sub_f32 v16, v30, v56
	s_delay_alu instid0(VALU_DEP_4)
	v_dual_sub_f32 v27, v43, v37 :: v_dual_sub_f32 v18, v32, v58
	v_dual_sub_f32 v19, v33, v19 :: v_dual_sub_f32 v20, v34, v60
	;; [unrolled: 1-line block ×3, first 2 shown]
	v_sub_f32_e32 v22, v36, v62
	v_sub_f32_e32 v26, v42, v66
	;; [unrolled: 1-line block ×3, first 2 shown]
	v_fma_f32 v12, v12, 2.0, -v14
	v_fma_f32 v29, v29, 2.0, -v15
	;; [unrolled: 1-line block ×15, first 2 shown]
	ds_store_2addr_stride64_b64 v46, v[11:12], v[13:14] offset1:2
	ds_store_2addr_stride64_b64 v47, v[29:30], v[15:16] offset1:2
	;; [unrolled: 1-line block ×8, first 2 shown]
	global_wb scope:SCOPE_SE
	s_wait_dscnt 0x0
	s_barrier_signal -1
	s_barrier_wait -1
	global_inv scope:SCOPE_SE
	s_clause 0x7
	global_load_b128 v[11:14], v45, s[4:5] offset:128
	global_load_b128 v[15:18], v45, s[4:5] offset:64
	;; [unrolled: 1-line block ×7, first 2 shown]
	global_load_b64 v[47:48], v45, s[4:5] offset:176
	v_or_b32_e32 v49, s15, v2
	v_mul_lo_u32 v43, v3, s14
	v_mov_b32_e32 v44, 0
	s_lshl_b64 s[4:5], s[8:9], 3
	ds_load_b64 v[80:81], v8
	v_mad_co_u64_u32 v[39:40], null, s12, v49, 0
	s_wait_alu 0xfffe
	s_add_nc_u64 s[0:1], s[0:1], s[4:5]
	v_lshlrev_b64_e32 v[2:3], 3, v[43:44]
	v_add_nc_u32_e32 v43, s10, v43
	s_delay_alu instid0(VALU_DEP_3) | instskip(NEXT) | instid1(VALU_DEP_2)
	v_mov_b32_e32 v9, v40
	v_lshlrev_b64_e32 v[41:42], 3, v[43:44]
	v_add_nc_u32_e32 v43, s10, v43
	s_delay_alu instid0(VALU_DEP_3) | instskip(SKIP_3) | instid1(VALU_DEP_1)
	v_mad_co_u64_u32 v[49:50], null, s13, v49, v[9:10]
	ds_load_b64 v[9:10], v10
	v_lshlrev_b64_e32 v[45:46], 3, v[43:44]
	v_dual_mov_b32 v40, v49 :: v_dual_add_nc_u32 v43, s10, v43
	v_lshlrev_b64_e32 v[50:51], 3, v[43:44]
	v_add_nc_u32_e32 v43, s10, v43
	s_delay_alu instid0(VALU_DEP_3) | instskip(NEXT) | instid1(VALU_DEP_2)
	v_lshlrev_b64_e32 v[39:40], 3, v[39:40]
	v_lshlrev_b64_e32 v[52:53], 3, v[43:44]
	v_add_nc_u32_e32 v43, s10, v43
	s_wait_alu 0xfffe
	s_delay_alu instid0(VALU_DEP_3) | instskip(SKIP_3) | instid1(VALU_DEP_3)
	v_add_co_u32 v82, vcc_lo, s0, v39
	s_wait_alu 0xfffd
	v_add_co_ci_u32_e32 v83, vcc_lo, s1, v40, vcc_lo
	v_lshlrev_b64_e32 v[54:55], 3, v[43:44]
	v_add_co_u32 v56, vcc_lo, v82, v2
	s_wait_alu 0xfffd
	s_delay_alu instid0(VALU_DEP_3)
	v_add_co_ci_u32_e32 v57, vcc_lo, v83, v3, vcc_lo
	v_add_co_u32 v58, vcc_lo, v82, v41
	v_add_nc_u32_e32 v43, s10, v43
	s_wait_alu 0xfffd
	v_add_co_ci_u32_e32 v59, vcc_lo, v83, v42, vcc_lo
	v_add_co_u32 v60, vcc_lo, v82, v45
	s_wait_alu 0xfffd
	v_add_co_ci_u32_e32 v61, vcc_lo, v83, v46, vcc_lo
	v_add_co_u32 v49, vcc_lo, v82, v50
	v_lshlrev_b64_e32 v[39:40], 3, v[43:44]
	v_add_nc_u32_e32 v43, s10, v43
	s_wait_alu 0xfffd
	v_add_co_ci_u32_e32 v50, vcc_lo, v83, v51, vcc_lo
	v_add_co_u32 v51, vcc_lo, v82, v52
	s_wait_alu 0xfffd
	v_add_co_ci_u32_e32 v52, vcc_lo, v83, v53, vcc_lo
	v_add_co_u32 v53, vcc_lo, v82, v54
	v_lshlrev_b64_e32 v[2:3], 3, v[43:44]
	v_add_nc_u32_e32 v43, s10, v43
	s_wait_alu 0xfffd
	v_add_co_ci_u32_e32 v54, vcc_lo, v83, v55, vcc_lo
	v_add_co_u32 v62, vcc_lo, v82, v39
	s_wait_alu 0xfffd
	v_add_co_ci_u32_e32 v63, vcc_lo, v83, v40, vcc_lo
	v_lshlrev_b64_e32 v[39:40], 3, v[43:44]
	v_add_nc_u32_e32 v43, s10, v43
	v_add_co_u32 v64, vcc_lo, v82, v2
	s_wait_alu 0xfffd
	v_add_co_ci_u32_e32 v65, vcc_lo, v83, v3, vcc_lo
	s_delay_alu instid0(VALU_DEP_3) | instskip(SKIP_4) | instid1(VALU_DEP_3)
	v_lshlrev_b64_e32 v[2:3], 3, v[43:44]
	v_add_nc_u32_e32 v43, s10, v43
	v_add_co_u32 v66, vcc_lo, v82, v39
	s_wait_alu 0xfffd
	v_add_co_ci_u32_e32 v67, vcc_lo, v83, v40, vcc_lo
	v_lshlrev_b64_e32 v[39:40], 3, v[43:44]
	v_add_nc_u32_e32 v43, s10, v43
	v_add_co_u32 v68, vcc_lo, v82, v2
	s_wait_alu 0xfffd
	v_add_co_ci_u32_e32 v69, vcc_lo, v83, v3, vcc_lo
	s_delay_alu instid0(VALU_DEP_3) | instskip(SKIP_4) | instid1(VALU_DEP_3)
	v_lshlrev_b64_e32 v[2:3], 3, v[43:44]
	v_add_nc_u32_e32 v43, s10, v43
	v_add_co_u32 v70, vcc_lo, v82, v39
	s_wait_alu 0xfffd
	v_add_co_ci_u32_e32 v71, vcc_lo, v83, v40, vcc_lo
	v_lshlrev_b64_e32 v[39:40], 3, v[43:44]
	v_add_co_u32 v72, vcc_lo, v82, v2
	s_wait_alu 0xfffd
	v_add_co_ci_u32_e32 v73, vcc_lo, v83, v3, vcc_lo
	s_delay_alu instid0(VALU_DEP_3) | instskip(SKIP_4) | instid1(VALU_DEP_1)
	v_add_co_u32 v74, vcc_lo, v82, v39
	s_wait_alu 0xfffd
	v_add_co_ci_u32_e32 v75, vcc_lo, v83, v40, vcc_lo
	ds_load_2addr_stride64_b64 v[39:42], v1 offset0:36 offset1:40
	v_add_nc_u32_e32 v43, s10, v43
	v_lshlrev_b64_e32 v[2:3], 3, v[43:44]
	v_add_nc_u32_e32 v43, s10, v43
	s_delay_alu instid0(VALU_DEP_1) | instskip(SKIP_1) | instid1(VALU_DEP_4)
	v_lshlrev_b64_e32 v[45:46], 3, v[43:44]
	v_add_nc_u32_e32 v43, s10, v43
	v_add_co_u32 v76, vcc_lo, v82, v2
	s_wait_alu 0xfffd
	v_add_co_ci_u32_e32 v77, vcc_lo, v83, v3, vcc_lo
	s_delay_alu instid0(VALU_DEP_3)
	v_lshlrev_b64_e32 v[2:3], 3, v[43:44]
	v_add_co_u32 v78, vcc_lo, v82, v45
	s_wait_alu 0xfffd
	v_add_co_ci_u32_e32 v79, vcc_lo, v83, v46, vcc_lo
	ds_load_2addr_stride64_b64 v[43:46], v1 offset1:32
	ds_load_b64 v[84:85], v0
	ds_load_b64 v[86:87], v4
	ds_load_2addr_b32 v[88:89], v5 offset1:1
	ds_load_b64 v[90:91], v6
	ds_load_b64 v[92:93], v7
	ds_load_b64 v[94:95], v1 offset:30720
	v_add_co_u32 v82, vcc_lo, v82, v2
	s_wait_alu 0xfffd
	v_add_co_ci_u32_e32 v83, vcc_lo, v83, v3, vcc_lo
	s_wait_loadcnt_dscnt 0x707
	v_mul_f32_e32 v0, v40, v12
	v_mul_f32_e32 v12, v39, v12
	;; [unrolled: 1-line block ×4, first 2 shown]
	s_wait_loadcnt 0x6
	v_mul_f32_e32 v6, v16, v10
	v_fma_f32 v0, v39, v11, -v0
	v_fmac_f32_e32 v12, v40, v11
	v_fma_f32 v11, v41, v13, -v2
	v_fmac_f32_e32 v14, v42, v13
	v_mul_f32_e32 v13, v16, v9
	ds_load_2addr_stride64_b64 v[2:5], v1 offset0:44 offset1:48
	v_fma_f32 v39, v15, v9, -v6
	ds_load_2addr_stride64_b64 v[6:9], v1 offset0:52 offset1:56
	v_mul_f32_e32 v16, v18, v81
	v_dual_mul_f32 v18, v18, v80 :: v_dual_fmac_f32 v13, v15, v10
	s_wait_loadcnt_dscnt 0x507
	v_mul_f32_e32 v15, v20, v84
	v_mul_f32_e32 v10, v20, v85
	v_fma_f32 v1, v17, v80, -v16
	s_wait_dscnt 0x6
	v_dual_fmac_f32 v18, v17, v81 :: v_dual_mul_f32 v17, v22, v86
	v_dual_mul_f32 v16, v22, v87 :: v_dual_fmac_f32 v15, v19, v85
	s_wait_loadcnt_dscnt 0x405
	v_mul_f32_e32 v20, v89, v24
	s_delay_alu instid0(VALU_DEP_3)
	v_dual_mul_f32 v22, v24, v88 :: v_dual_fmac_f32 v17, v21, v87
	v_fma_f32 v10, v19, v84, -v10
	s_wait_dscnt 0x4
	v_mul_f32_e32 v19, v91, v26
	v_mul_f32_e32 v24, v90, v26
	v_fma_f32 v16, v21, v86, -v16
	s_wait_loadcnt_dscnt 0x303
	v_mul_f32_e32 v21, v93, v28
	v_mul_f32_e32 v26, v92, v28
	;; [unrolled: 1-line block ×3, first 2 shown]
	s_wait_loadcnt_dscnt 0x100
	v_dual_mul_f32 v40, v3, v32 :: v_dual_mul_f32 v41, v9, v38
	v_mul_f32_e32 v38, v8, v38
	v_fma_f32 v19, v90, v25, -v19
	v_fmac_f32_e32 v22, v89, v23
	v_fmac_f32_e32 v24, v91, v25
	v_mul_f32_e32 v25, v7, v36
	v_fma_f32 v21, v92, v27, -v21
	v_fmac_f32_e32 v38, v9, v37
	v_mul_f32_e32 v36, v6, v36
	v_sub_f32_e32 v14, v18, v14
	v_fmac_f32_e32 v26, v93, v27
	v_fma_f32 v27, v45, v29, -v28
	v_sub_f32_e32 v11, v1, v11
	v_fmac_f32_e32 v36, v7, v35
	v_sub_f32_e32 v0, v39, v0
	s_delay_alu instid0(VALU_DEP_4) | instskip(SKIP_4) | instid1(VALU_DEP_2)
	v_sub_f32_e32 v7, v43, v27
	v_fma_f32 v20, v23, v88, -v20
	v_mul_f32_e32 v23, v5, v34
	v_mul_f32_e32 v34, v4, v34
	v_fma_f32 v1, v1, 2.0, -v11
	v_fmac_f32_e32 v34, v5, v33
	v_mul_f32_e32 v32, v2, v32
	v_fma_f32 v5, v8, v37, -v41
	v_fma_f32 v2, v2, v31, -v40
	s_delay_alu instid0(VALU_DEP_3)
	v_dual_sub_f32 v9, v17, v34 :: v_dual_fmac_f32 v32, v3, v31
	v_fma_f32 v3, v4, v33, -v23
	v_mul_f32_e32 v30, v45, v30
	v_fma_f32 v4, v6, v35, -v25
	v_sub_f32_e32 v5, v19, v5
	v_sub_f32_e32 v25, v22, v36
	;; [unrolled: 1-line block ×3, first 2 shown]
	v_dual_sub_f32 v23, v24, v38 :: v_dual_fmac_f32 v30, v46, v29
	s_delay_alu instid0(VALU_DEP_4) | instskip(SKIP_1) | instid1(VALU_DEP_4)
	v_fma_f32 v19, v19, 2.0, -v5
	v_fma_f32 v17, v17, 2.0, -v9
	;; [unrolled: 1-line block ×3, first 2 shown]
	s_delay_alu instid0(VALU_DEP_4) | instskip(SKIP_4) | instid1(VALU_DEP_3)
	v_fma_f32 v24, v24, 2.0, -v23
	v_dual_sub_f32 v23, v11, v23 :: v_dual_sub_f32 v8, v44, v30
	s_wait_loadcnt 0x0
	v_dual_sub_f32 v19, v1, v19 :: v_dual_mul_f32 v42, v95, v48
	v_dual_mul_f32 v48, v94, v48 :: v_dual_sub_f32 v9, v7, v9
	v_fma_f32 v30, v44, 2.0, -v8
	v_add_f32_e32 v3, v8, v3
	s_delay_alu instid0(VALU_DEP_4)
	v_fma_f32 v1, v1, 2.0, -v19
	v_fma_f32 v6, v94, v47, -v42
	v_fma_f32 v22, v22, 2.0, -v25
	v_sub_f32_e32 v17, v30, v17
	v_fma_f32 v8, v8, 2.0, -v3
	v_sub_f32_e32 v25, v0, v25
	v_sub_f32_e32 v27, v15, v32
	v_fma_f32 v11, v11, 2.0, -v23
	v_add_f32_e32 v19, v17, v19
	v_dual_add_f32 v5, v14, v5 :: v_dual_fmac_f32 v48, v95, v47
	v_fma_f32 v18, v18, 2.0, -v14
	v_sub_f32_e32 v4, v20, v4
	v_fma_f32 v29, v43, 2.0, -v7
	s_delay_alu instid0(VALU_DEP_4) | instskip(SKIP_2) | instid1(VALU_DEP_3)
	v_dual_fmamk_f32 v33, v5, 0x3f3504f3, v3 :: v_dual_sub_f32 v2, v10, v2
	v_sub_f32_e32 v28, v26, v48
	v_fma_f32 v14, v14, 2.0, -v5
	v_dual_sub_f32 v12, v13, v12 :: v_dual_fmac_f32 v33, 0x3f3504f3, v23
	s_delay_alu instid0(VALU_DEP_4) | instskip(NEXT) | instid1(VALU_DEP_4)
	v_fma_f32 v10, v10, 2.0, -v2
	v_fma_f32 v26, v26, 2.0, -v28
	s_delay_alu instid0(VALU_DEP_4) | instskip(SKIP_3) | instid1(VALU_DEP_4)
	v_fmamk_f32 v37, v14, 0xbf3504f3, v8
	v_sub_f32_e32 v28, v2, v28
	v_fma_f32 v13, v13, 2.0, -v12
	v_fma_f32 v20, v20, 2.0, -v4
	v_dual_add_f32 v4, v12, v4 :: v_dual_fmac_f32 v37, 0x3f3504f3, v11
	s_delay_alu instid0(VALU_DEP_4)
	v_fma_f32 v2, v2, 2.0, -v28
	v_sub_f32_e32 v6, v21, v6
	v_sub_f32_e32 v22, v13, v22
	v_fma_f32 v15, v15, 2.0, -v27
	v_fma_f32 v12, v12, 2.0, -v4
	;; [unrolled: 1-line block ×4, first 2 shown]
	v_add_f32_e32 v6, v27, v6
	v_fma_f32 v41, v17, 2.0, -v19
	v_fma_f32 v7, v7, 2.0, -v9
	;; [unrolled: 1-line block ×3, first 2 shown]
	s_delay_alu instid0(VALU_DEP_4) | instskip(SKIP_3) | instid1(VALU_DEP_1)
	v_fmamk_f32 v35, v6, 0x3f3504f3, v4
	v_fma_f32 v31, v39, 2.0, -v0
	v_fma_f32 v32, v0, 2.0, -v25
	v_dual_sub_f32 v0, v10, v21 :: v_dual_sub_f32 v21, v15, v26
	v_add_f32_e32 v39, v22, v0
	v_fma_f32 v26, v27, 2.0, -v6
	v_fmamk_f32 v27, v23, 0x3f3504f3, v9
	v_dual_fmamk_f32 v23, v2, 0xbf3504f3, v32 :: v_dual_sub_f32 v16, v29, v16
	s_delay_alu instid0(VALU_DEP_4)
	v_fma_f32 v17, v22, 2.0, -v39
	v_sub_f32_e32 v20, v31, v20
	v_sub_f32_e32 v24, v18, v24
	v_fma_f32 v10, v10, 2.0, -v0
	v_dual_fmac_f32 v27, 0xbf3504f3, v5 :: v_dual_fmamk_f32 v38, v26, 0xbf3504f3, v12
	v_fmac_f32_e32 v23, 0xbf3504f3, v26
	v_fma_f32 v29, v29, 2.0, -v16
	v_fmamk_f32 v5, v17, 0xbf3504f3, v41
	v_fma_f32 v31, v31, 2.0, -v20
	v_fma_f32 v15, v15, 2.0, -v21
	;; [unrolled: 1-line block ×3, first 2 shown]
	v_dual_fmac_f32 v38, 0x3f3504f3, v2 :: v_dual_sub_f32 v21, v20, v21
	s_delay_alu instid0(VALU_DEP_4) | instskip(SKIP_4) | instid1(VALU_DEP_3)
	v_dual_sub_f32 v9, v31, v10 :: v_dual_fmamk_f32 v34, v28, 0x3f3504f3, v25
	v_fmac_f32_e32 v35, 0x3f3504f3, v28
	v_fma_f32 v13, v13, 2.0, -v22
	v_dual_sub_f32 v28, v29, v1 :: v_dual_fmamk_f32 v1, v39, 0x3f3504f3, v19
	v_fma_f32 v18, v18, 2.0, -v24
	v_dual_fmamk_f32 v3, v35, 0x3f6c835e, v33 :: v_dual_sub_f32 v10, v13, v15
	v_fma_f32 v22, v4, 2.0, -v35
	v_sub_f32_e32 v24, v16, v24
	s_delay_alu instid0(VALU_DEP_4) | instskip(NEXT) | instid1(VALU_DEP_4)
	v_dual_sub_f32 v18, v30, v18 :: v_dual_fmac_f32 v1, 0x3f3504f3, v21
	v_fma_f32 v13, v13, 2.0, -v10
	s_delay_alu instid0(VALU_DEP_3) | instskip(NEXT) | instid1(VALU_DEP_3)
	v_fma_f32 v40, v16, 2.0, -v24
	v_fma_f32 v26, v30, 2.0, -v18
	v_fmamk_f32 v36, v11, 0xbf3504f3, v7
	v_fma_f32 v16, v20, 2.0, -v21
	v_fma_f32 v30, v8, 2.0, -v37
	;; [unrolled: 1-line block ×3, first 2 shown]
	s_delay_alu instid0(VALU_DEP_4)
	v_dual_sub_f32 v13, v26, v13 :: v_dual_fmac_f32 v36, 0xbf3504f3, v14
	v_fma_f32 v14, v31, 2.0, -v9
	v_dual_add_f32 v9, v18, v9 :: v_dual_fmac_f32 v34, 0xbf3504f3, v6
	v_fma_f32 v31, v32, 2.0, -v23
	v_fmac_f32_e32 v5, 0x3f3504f3, v16
	v_fma_f32 v32, v12, 2.0, -v38
	v_fmamk_f32 v11, v38, 0x3ec3ef15, v37
	v_fma_f32 v20, v25, 2.0, -v34
	v_fma_f32 v25, v29, 2.0, -v28
	;; [unrolled: 1-line block ×3, first 2 shown]
	v_fmamk_f32 v15, v32, 0xbf6c835e, v30
	v_fmamk_f32 v4, v16, 0xbf3504f3, v40
	s_delay_alu instid0(VALU_DEP_4) | instskip(NEXT) | instid1(VALU_DEP_4)
	v_dual_fmamk_f32 v7, v22, 0xbec3ef15, v43 :: v_dual_sub_f32 v12, v25, v14
	v_fmamk_f32 v14, v31, 0xbf6c835e, v29
	v_fmamk_f32 v0, v21, 0x3f3504f3, v24
	;; [unrolled: 1-line block ×4, first 2 shown]
	v_fmac_f32_e32 v3, 0x3ec3ef15, v34
	v_dual_sub_f32 v8, v28, v10 :: v_dual_fmac_f32 v7, 0x3f6c835e, v20
	v_dual_fmamk_f32 v10, v23, 0x3ec3ef15, v36 :: v_dual_fmac_f32 v15, 0x3ec3ef15, v31
	v_fmac_f32_e32 v14, 0xbec3ef15, v32
	v_fmac_f32_e32 v0, 0xbf3504f3, v39
	;; [unrolled: 1-line block ×7, first 2 shown]
	v_fma_f32 v22, v25, 2.0, -v12
	v_fma_f32 v23, v26, 2.0, -v13
	;; [unrolled: 1-line block ×15, first 2 shown]
	s_clause 0xf
	global_store_b64 v[56:57], v[22:23], off
	global_store_b64 v[58:59], v[28:29], off
	global_store_b64 v[60:61], v[24:25], off
	global_store_b64 v[49:50], v[26:27], off
	global_store_b64 v[51:52], v[16:17], off
	global_store_b64 v[53:54], v[30:31], off
	global_store_b64 v[62:63], v[18:19], off
	global_store_b64 v[64:65], v[20:21], off
	global_store_b64 v[66:67], v[12:13], off
	global_store_b64 v[68:69], v[14:15], off
	global_store_b64 v[70:71], v[4:5], off
	global_store_b64 v[72:73], v[6:7], off
	global_store_b64 v[74:75], v[8:9], off
	global_store_b64 v[76:77], v[10:11], off
	global_store_b64 v[78:79], v[0:1], off
	global_store_b64 v[82:83], v[2:3], off
	s_nop 0
	s_sendmsg sendmsg(MSG_DEALLOC_VGPRS)
	s_endpgm
	.section	.rodata,"a",@progbits
	.p2align	6, 0x0
	.amdhsa_kernel fft_rtc_fwd_len256_factors_8_2_16_wgs_256_tpt_16_dim3_sp_op_CI_CI_sbrc_xy_z_aligned_dirReg
		.amdhsa_group_segment_fixed_size 0
		.amdhsa_private_segment_fixed_size 0
		.amdhsa_kernarg_size 96
		.amdhsa_user_sgpr_count 2
		.amdhsa_user_sgpr_dispatch_ptr 0
		.amdhsa_user_sgpr_queue_ptr 0
		.amdhsa_user_sgpr_kernarg_segment_ptr 1
		.amdhsa_user_sgpr_dispatch_id 0
		.amdhsa_user_sgpr_private_segment_size 0
		.amdhsa_wavefront_size32 1
		.amdhsa_uses_dynamic_stack 0
		.amdhsa_enable_private_segment 0
		.amdhsa_system_sgpr_workgroup_id_x 1
		.amdhsa_system_sgpr_workgroup_id_y 0
		.amdhsa_system_sgpr_workgroup_id_z 0
		.amdhsa_system_sgpr_workgroup_info 0
		.amdhsa_system_vgpr_workitem_id 0
		.amdhsa_next_free_vgpr 96
		.amdhsa_next_free_sgpr 30
		.amdhsa_reserve_vcc 1
		.amdhsa_float_round_mode_32 0
		.amdhsa_float_round_mode_16_64 0
		.amdhsa_float_denorm_mode_32 3
		.amdhsa_float_denorm_mode_16_64 3
		.amdhsa_fp16_overflow 0
		.amdhsa_workgroup_processor_mode 1
		.amdhsa_memory_ordered 1
		.amdhsa_forward_progress 0
		.amdhsa_round_robin_scheduling 0
		.amdhsa_exception_fp_ieee_invalid_op 0
		.amdhsa_exception_fp_denorm_src 0
		.amdhsa_exception_fp_ieee_div_zero 0
		.amdhsa_exception_fp_ieee_overflow 0
		.amdhsa_exception_fp_ieee_underflow 0
		.amdhsa_exception_fp_ieee_inexact 0
		.amdhsa_exception_int_div_zero 0
	.end_amdhsa_kernel
	.text
.Lfunc_end0:
	.size	fft_rtc_fwd_len256_factors_8_2_16_wgs_256_tpt_16_dim3_sp_op_CI_CI_sbrc_xy_z_aligned_dirReg, .Lfunc_end0-fft_rtc_fwd_len256_factors_8_2_16_wgs_256_tpt_16_dim3_sp_op_CI_CI_sbrc_xy_z_aligned_dirReg
                                        ; -- End function
	.section	.AMDGPU.csdata,"",@progbits
; Kernel info:
; codeLenInByte = 5616
; NumSgprs: 32
; NumVgprs: 96
; ScratchSize: 0
; MemoryBound: 0
; FloatMode: 240
; IeeeMode: 1
; LDSByteSize: 0 bytes/workgroup (compile time only)
; SGPRBlocks: 3
; VGPRBlocks: 11
; NumSGPRsForWavesPerEU: 32
; NumVGPRsForWavesPerEU: 96
; Occupancy: 16
; WaveLimiterHint : 1
; COMPUTE_PGM_RSRC2:SCRATCH_EN: 0
; COMPUTE_PGM_RSRC2:USER_SGPR: 2
; COMPUTE_PGM_RSRC2:TRAP_HANDLER: 0
; COMPUTE_PGM_RSRC2:TGID_X_EN: 1
; COMPUTE_PGM_RSRC2:TGID_Y_EN: 0
; COMPUTE_PGM_RSRC2:TGID_Z_EN: 0
; COMPUTE_PGM_RSRC2:TIDIG_COMP_CNT: 0
	.text
	.p2alignl 7, 3214868480
	.fill 96, 4, 3214868480
	.type	__hip_cuid_ad7eb6825124220c,@object ; @__hip_cuid_ad7eb6825124220c
	.section	.bss,"aw",@nobits
	.globl	__hip_cuid_ad7eb6825124220c
__hip_cuid_ad7eb6825124220c:
	.byte	0                               ; 0x0
	.size	__hip_cuid_ad7eb6825124220c, 1

	.ident	"AMD clang version 19.0.0git (https://github.com/RadeonOpenCompute/llvm-project roc-6.4.0 25133 c7fe45cf4b819c5991fe208aaa96edf142730f1d)"
	.section	".note.GNU-stack","",@progbits
	.addrsig
	.addrsig_sym __hip_cuid_ad7eb6825124220c
	.amdgpu_metadata
---
amdhsa.kernels:
  - .args:
      - .actual_access:  read_only
        .address_space:  global
        .offset:         0
        .size:           8
        .value_kind:     global_buffer
      - .actual_access:  read_only
        .address_space:  global
        .offset:         8
        .size:           8
        .value_kind:     global_buffer
      - .actual_access:  read_only
        .address_space:  global
        .offset:         16
        .size:           8
        .value_kind:     global_buffer
      - .actual_access:  read_only
        .address_space:  global
        .offset:         24
        .size:           8
        .value_kind:     global_buffer
      - .offset:         32
        .size:           8
        .value_kind:     by_value
      - .actual_access:  read_only
        .address_space:  global
        .offset:         40
        .size:           8
        .value_kind:     global_buffer
      - .actual_access:  read_only
        .address_space:  global
        .offset:         48
        .size:           8
        .value_kind:     global_buffer
      - .offset:         56
        .size:           4
        .value_kind:     by_value
      - .actual_access:  read_only
        .address_space:  global
        .offset:         64
        .size:           8
        .value_kind:     global_buffer
      - .actual_access:  read_only
        .address_space:  global
        .offset:         72
        .size:           8
        .value_kind:     global_buffer
      - .actual_access:  read_only
        .address_space:  global
        .offset:         80
        .size:           8
        .value_kind:     global_buffer
      - .actual_access:  write_only
        .address_space:  global
        .offset:         88
        .size:           8
        .value_kind:     global_buffer
    .group_segment_fixed_size: 0
    .kernarg_segment_align: 8
    .kernarg_segment_size: 96
    .language:       OpenCL C
    .language_version:
      - 2
      - 0
    .max_flat_workgroup_size: 256
    .name:           fft_rtc_fwd_len256_factors_8_2_16_wgs_256_tpt_16_dim3_sp_op_CI_CI_sbrc_xy_z_aligned_dirReg
    .private_segment_fixed_size: 0
    .sgpr_count:     32
    .sgpr_spill_count: 0
    .symbol:         fft_rtc_fwd_len256_factors_8_2_16_wgs_256_tpt_16_dim3_sp_op_CI_CI_sbrc_xy_z_aligned_dirReg.kd
    .uniform_work_group_size: 1
    .uses_dynamic_stack: false
    .vgpr_count:     96
    .vgpr_spill_count: 0
    .wavefront_size: 32
    .workgroup_processor_mode: 1
amdhsa.target:   amdgcn-amd-amdhsa--gfx1201
amdhsa.version:
  - 1
  - 2
...

	.end_amdgpu_metadata
